;; amdgpu-corpus repo=ROCm/rocFFT kind=compiled arch=gfx950 opt=O3
	.text
	.amdgcn_target "amdgcn-amd-amdhsa--gfx950"
	.amdhsa_code_object_version 6
	.protected	fft_rtc_back_len2560_factors_4_4_4_10_4_wgs_128_tpt_128_halfLds_half_ip_CI_unitstride_sbrr_dirReg ; -- Begin function fft_rtc_back_len2560_factors_4_4_4_10_4_wgs_128_tpt_128_halfLds_half_ip_CI_unitstride_sbrr_dirReg
	.globl	fft_rtc_back_len2560_factors_4_4_4_10_4_wgs_128_tpt_128_halfLds_half_ip_CI_unitstride_sbrr_dirReg
	.p2align	8
	.type	fft_rtc_back_len2560_factors_4_4_4_10_4_wgs_128_tpt_128_halfLds_half_ip_CI_unitstride_sbrr_dirReg,@function
fft_rtc_back_len2560_factors_4_4_4_10_4_wgs_128_tpt_128_halfLds_half_ip_CI_unitstride_sbrr_dirReg: ; @fft_rtc_back_len2560_factors_4_4_4_10_4_wgs_128_tpt_128_halfLds_half_ip_CI_unitstride_sbrr_dirReg
; %bb.0:
	s_load_dwordx2 s[8:9], s[0:1], 0x50
	s_load_dwordx4 s[4:7], s[0:1], 0x0
	s_load_dwordx2 s[10:11], s[0:1], 0x18
	v_mov_b32_e32 v6, s2
	v_mov_b32_e32 v4, 0
	v_mov_b32_e32 v7, v4
	s_waitcnt lgkmcnt(0)
	v_cmp_lt_u64_e64 s[2:3], s[6:7], 2
	s_and_b64 vcc, exec, s[2:3]
	v_mov_b64_e32 v[2:3], 0
	s_cbranch_vccnz .LBB0_8
; %bb.1:
	s_load_dwordx2 s[2:3], s[0:1], 0x10
	s_add_u32 s12, s10, 8
	s_addc_u32 s13, s11, 0
	s_mov_b64 s[14:15], 1
	v_mov_b64_e32 v[2:3], 0
	s_waitcnt lgkmcnt(0)
	s_add_u32 s16, s2, 8
	s_addc_u32 s17, s3, 0
.LBB0_2:                                ; =>This Inner Loop Header: Depth=1
	s_load_dwordx2 s[18:19], s[16:17], 0x0
                                        ; implicit-def: $vgpr8_vgpr9
	s_waitcnt lgkmcnt(0)
	v_or_b32_e32 v5, s19, v7
	v_cmp_ne_u64_e32 vcc, 0, v[4:5]
	s_and_saveexec_b64 s[2:3], vcc
	s_xor_b64 s[20:21], exec, s[2:3]
	s_cbranch_execz .LBB0_4
; %bb.3:                                ;   in Loop: Header=BB0_2 Depth=1
	v_cvt_f32_u32_e32 v1, s18
	v_cvt_f32_u32_e32 v5, s19
	s_sub_u32 s2, 0, s18
	s_subb_u32 s3, 0, s19
	v_fmac_f32_e32 v1, 0x4f800000, v5
	v_rcp_f32_e32 v1, v1
	s_nop 0
	v_mul_f32_e32 v1, 0x5f7ffffc, v1
	v_mul_f32_e32 v5, 0x2f800000, v1
	v_trunc_f32_e32 v5, v5
	v_fmac_f32_e32 v1, 0xcf800000, v5
	v_cvt_u32_f32_e32 v5, v5
	v_cvt_u32_f32_e32 v1, v1
	v_mul_lo_u32 v8, s2, v5
	v_mul_hi_u32 v10, s2, v1
	v_mul_lo_u32 v9, s3, v1
	v_add_u32_e32 v10, v10, v8
	v_mul_lo_u32 v12, s2, v1
	v_add_u32_e32 v13, v10, v9
	v_mul_hi_u32 v8, v1, v12
	v_mul_hi_u32 v11, v1, v13
	v_mul_lo_u32 v10, v1, v13
	v_mov_b32_e32 v9, v4
	v_lshl_add_u64 v[8:9], v[8:9], 0, v[10:11]
	v_mul_hi_u32 v11, v5, v12
	v_mul_lo_u32 v12, v5, v12
	v_add_co_u32_e32 v8, vcc, v8, v12
	v_mul_hi_u32 v10, v5, v13
	s_nop 0
	v_addc_co_u32_e32 v8, vcc, v9, v11, vcc
	v_mov_b32_e32 v9, v4
	s_nop 0
	v_addc_co_u32_e32 v11, vcc, 0, v10, vcc
	v_mul_lo_u32 v10, v5, v13
	v_lshl_add_u64 v[8:9], v[8:9], 0, v[10:11]
	v_add_co_u32_e32 v1, vcc, v1, v8
	v_mul_lo_u32 v10, s2, v1
	s_nop 0
	v_addc_co_u32_e32 v5, vcc, v5, v9, vcc
	v_mul_lo_u32 v8, s2, v5
	v_mul_hi_u32 v9, s2, v1
	v_add_u32_e32 v8, v9, v8
	v_mul_lo_u32 v9, s3, v1
	v_add_u32_e32 v12, v8, v9
	v_mul_hi_u32 v14, v5, v10
	v_mul_lo_u32 v15, v5, v10
	v_mul_hi_u32 v9, v1, v12
	v_mul_lo_u32 v8, v1, v12
	v_mul_hi_u32 v10, v1, v10
	v_mov_b32_e32 v11, v4
	v_lshl_add_u64 v[8:9], v[10:11], 0, v[8:9]
	v_add_co_u32_e32 v8, vcc, v8, v15
	v_mul_hi_u32 v13, v5, v12
	s_nop 0
	v_addc_co_u32_e32 v8, vcc, v9, v14, vcc
	v_mul_lo_u32 v10, v5, v12
	s_nop 0
	v_addc_co_u32_e32 v11, vcc, 0, v13, vcc
	v_mov_b32_e32 v9, v4
	v_lshl_add_u64 v[8:9], v[8:9], 0, v[10:11]
	v_add_co_u32_e32 v1, vcc, v1, v8
	v_mul_hi_u32 v10, v6, v1
	s_nop 0
	v_addc_co_u32_e32 v5, vcc, v5, v9, vcc
	v_mad_u64_u32 v[8:9], s[2:3], v6, v5, 0
	v_mov_b32_e32 v11, v4
	v_lshl_add_u64 v[8:9], v[10:11], 0, v[8:9]
	v_mad_u64_u32 v[12:13], s[2:3], v7, v1, 0
	v_add_co_u32_e32 v1, vcc, v8, v12
	v_mad_u64_u32 v[10:11], s[2:3], v7, v5, 0
	s_nop 0
	v_addc_co_u32_e32 v8, vcc, v9, v13, vcc
	v_mov_b32_e32 v9, v4
	s_nop 0
	v_addc_co_u32_e32 v11, vcc, 0, v11, vcc
	v_lshl_add_u64 v[8:9], v[8:9], 0, v[10:11]
	v_mul_lo_u32 v1, s19, v8
	v_mul_lo_u32 v5, s18, v9
	v_mad_u64_u32 v[10:11], s[2:3], s18, v8, 0
	v_add3_u32 v1, v11, v5, v1
	v_sub_u32_e32 v5, v7, v1
	v_mov_b32_e32 v11, s19
	v_sub_co_u32_e32 v14, vcc, v6, v10
	v_lshl_add_u64 v[12:13], v[8:9], 0, 1
	s_nop 0
	v_subb_co_u32_e64 v5, s[2:3], v5, v11, vcc
	v_subrev_co_u32_e64 v10, s[2:3], s18, v14
	v_subb_co_u32_e32 v1, vcc, v7, v1, vcc
	s_nop 0
	v_subbrev_co_u32_e64 v5, s[2:3], 0, v5, s[2:3]
	v_cmp_le_u32_e64 s[2:3], s19, v5
	v_cmp_le_u32_e32 vcc, s19, v1
	s_nop 0
	v_cndmask_b32_e64 v11, 0, -1, s[2:3]
	v_cmp_le_u32_e64 s[2:3], s18, v10
	s_nop 1
	v_cndmask_b32_e64 v10, 0, -1, s[2:3]
	v_cmp_eq_u32_e64 s[2:3], s19, v5
	s_nop 1
	v_cndmask_b32_e64 v5, v11, v10, s[2:3]
	v_lshl_add_u64 v[10:11], v[8:9], 0, 2
	v_cmp_ne_u32_e64 s[2:3], 0, v5
	s_nop 1
	v_cndmask_b32_e64 v5, v13, v11, s[2:3]
	v_cndmask_b32_e64 v11, 0, -1, vcc
	v_cmp_le_u32_e32 vcc, s18, v14
	s_nop 1
	v_cndmask_b32_e64 v13, 0, -1, vcc
	v_cmp_eq_u32_e32 vcc, s19, v1
	s_nop 1
	v_cndmask_b32_e32 v1, v11, v13, vcc
	v_cmp_ne_u32_e32 vcc, 0, v1
	v_cndmask_b32_e64 v1, v12, v10, s[2:3]
	s_nop 0
	v_cndmask_b32_e32 v9, v9, v5, vcc
	v_cndmask_b32_e32 v8, v8, v1, vcc
.LBB0_4:                                ;   in Loop: Header=BB0_2 Depth=1
	s_andn2_saveexec_b64 s[2:3], s[20:21]
	s_cbranch_execz .LBB0_6
; %bb.5:                                ;   in Loop: Header=BB0_2 Depth=1
	v_cvt_f32_u32_e32 v1, s18
	s_sub_i32 s20, 0, s18
	v_rcp_iflag_f32_e32 v1, v1
	s_nop 0
	v_mul_f32_e32 v1, 0x4f7ffffe, v1
	v_cvt_u32_f32_e32 v1, v1
	v_mul_lo_u32 v5, s20, v1
	v_mul_hi_u32 v5, v1, v5
	v_add_u32_e32 v1, v1, v5
	v_mul_hi_u32 v1, v6, v1
	v_mul_lo_u32 v5, v1, s18
	v_sub_u32_e32 v5, v6, v5
	v_add_u32_e32 v8, 1, v1
	v_subrev_u32_e32 v9, s18, v5
	v_cmp_le_u32_e32 vcc, s18, v5
	s_nop 1
	v_cndmask_b32_e32 v5, v5, v9, vcc
	v_cndmask_b32_e32 v1, v1, v8, vcc
	v_add_u32_e32 v8, 1, v1
	v_cmp_le_u32_e32 vcc, s18, v5
	v_mov_b32_e32 v9, v4
	s_nop 0
	v_cndmask_b32_e32 v8, v1, v8, vcc
.LBB0_6:                                ;   in Loop: Header=BB0_2 Depth=1
	s_or_b64 exec, exec, s[2:3]
	v_mad_u64_u32 v[10:11], s[2:3], v8, s18, 0
	s_load_dwordx2 s[2:3], s[12:13], 0x0
	v_mul_lo_u32 v1, v9, s18
	v_mul_lo_u32 v5, v8, s19
	v_add3_u32 v1, v11, v5, v1
	v_sub_co_u32_e32 v5, vcc, v6, v10
	s_add_u32 s14, s14, 1
	s_nop 0
	v_subb_co_u32_e32 v1, vcc, v7, v1, vcc
	s_addc_u32 s15, s15, 0
	s_waitcnt lgkmcnt(0)
	v_mul_lo_u32 v1, s2, v1
	v_mul_lo_u32 v6, s3, v5
	v_mad_u64_u32 v[2:3], s[2:3], s2, v5, v[2:3]
	s_add_u32 s12, s12, 8
	v_add3_u32 v3, v6, v3, v1
	s_addc_u32 s13, s13, 0
	v_mov_b64_e32 v[6:7], s[6:7]
	s_add_u32 s16, s16, 8
	v_cmp_ge_u64_e32 vcc, s[14:15], v[6:7]
	s_addc_u32 s17, s17, 0
	s_cbranch_vccnz .LBB0_9
; %bb.7:                                ;   in Loop: Header=BB0_2 Depth=1
	v_mov_b64_e32 v[6:7], v[8:9]
	s_branch .LBB0_2
.LBB0_8:
	v_mov_b64_e32 v[8:9], v[6:7]
.LBB0_9:
	s_lshl_b64 s[2:3], s[6:7], 3
	s_add_u32 s2, s10, s2
	s_addc_u32 s3, s11, s3
	s_load_dwordx2 s[6:7], s[2:3], 0x0
	s_load_dwordx2 s[10:11], s[0:1], 0x20
                                        ; implicit-def: $sgpr2
                                        ; implicit-def: $vgpr10
                                        ; implicit-def: $vgpr11
	s_waitcnt lgkmcnt(0)
	v_mul_lo_u32 v1, s6, v9
	v_mul_lo_u32 v4, s7, v8
	v_mad_u64_u32 v[2:3], s[0:1], s6, v8, v[2:3]
	v_add3_u32 v3, v4, v3, v1
	v_cmp_gt_u64_e32 vcc, s[10:11], v[8:9]
	v_cmp_le_u64_e64 s[0:1], s[10:11], v[8:9]
                                        ; implicit-def: $vgpr1
                                        ; implicit-def: $vgpr9
	s_and_saveexec_b64 s[6:7], s[0:1]
	s_xor_b64 s[0:1], exec, s[6:7]
; %bb.10:
	v_or_b32_e32 v1, 0x80, v0
	v_or_b32_e32 v9, 0x100, v0
	;; [unrolled: 1-line block ×4, first 2 shown]
	s_mov_b32 s2, 0
; %bb.11:
	s_or_saveexec_b64 s[0:1], s[0:1]
	v_mov_b32_e32 v19, s2
	v_lshl_add_u64 v[6:7], v[2:3], 2, s[8:9]
	v_lshlrev_b32_e32 v8, 2, v0
	v_mov_b32_e32 v37, s2
	v_mov_b32_e32 v24, s2
	v_mov_b32_e32 v3, s2
	v_mov_b32_e32 v13, s2
	v_mov_b32_e32 v20, s2
	v_mov_b32_e32 v4, s2
	v_mov_b32_e32 v12, s2
	v_mov_b32_e32 v21, s2
	v_mov_b32_e32 v18, s2
                                        ; implicit-def: $vgpr36
                                        ; implicit-def: $vgpr2
                                        ; implicit-def: $vgpr35
                                        ; implicit-def: $vgpr28
                                        ; implicit-def: $vgpr34
                                        ; implicit-def: $vgpr26
                                        ; implicit-def: $vgpr33
                                        ; implicit-def: $vgpr22
                                        ; implicit-def: $vgpr32
                                        ; implicit-def: $vgpr16
                                        ; implicit-def: $vgpr31
                                        ; implicit-def: $vgpr14
                                        ; implicit-def: $vgpr30
                                        ; implicit-def: $vgpr5
                                        ; implicit-def: $vgpr29
                                        ; implicit-def: $vgpr23
                                        ; implicit-def: $vgpr27
                                        ; implicit-def: $vgpr17
                                        ; implicit-def: $vgpr25
                                        ; implicit-def: $vgpr15
	s_xor_b64 exec, exec, s[0:1]
	s_cbranch_execz .LBB0_13
; %bb.12:
	v_mov_b32_e32 v9, 0
	v_or_b32_e32 v2, 0x1400, v8
	v_mov_b32_e32 v3, v9
	v_lshl_add_u64 v[4:5], v[6:7], 0, v[2:3]
	v_or_b32_e32 v2, 0x1e00, v8
	v_lshl_add_u64 v[10:11], v[6:7], 0, v[8:9]
	v_lshl_add_u64 v[30:31], v[6:7], 0, v[2:3]
	global_load_dword v2, v[4:5], off
	global_load_dword v3, v[10:11], off offset:3072
	v_or_b32_e32 v4, 0x1600, v8
	v_mov_b32_e32 v5, v9
	v_lshl_add_u64 v[32:33], v[6:7], 0, v[4:5]
	v_or_b32_e32 v4, 0x2000, v8
	v_lshl_add_u64 v[34:35], v[6:7], 0, v[4:5]
	v_or_b32_e32 v4, 0xe00, v8
	;; [unrolled: 2-line block ×4, first 2 shown]
	v_or_b32_e32 v14, 0x1000, v8
	v_mov_b32_e32 v15, v9
	v_lshl_add_u64 v[40:41], v[6:7], 0, v[4:5]
	global_load_dword v19, v[10:11], off
	global_load_dword v24, v[10:11], off offset:512
	global_load_dword v13, v[10:11], off offset:1024
	;; [unrolled: 1-line block ×3, first 2 shown]
	v_lshl_add_u64 v[42:43], v[6:7], 0, v[14:15]
	v_or_b32_e32 v14, 0x1a00, v8
	v_lshl_add_u64 v[44:45], v[6:7], 0, v[14:15]
	global_load_dword v28, v[30:31], off
	global_load_dword v26, v[32:33], off
	global_load_dword v22, v[34:35], off
	global_load_dword v20, v[36:37], off
	global_load_dword v16, v[38:39], off
	global_load_dword v14, v[40:41], off
	global_load_dword v12, v[42:43], off
	global_load_dword v5, v[44:45], off
	v_or_b32_e32 v30, 0x2400, v8
	v_mov_b32_e32 v31, v9
	v_lshl_add_u64 v[30:31], v[6:7], 0, v[30:31]
	v_or_b32_e32 v32, 0x1200, v8
	v_mov_b32_e32 v33, v9
	v_or_b32_e32 v34, 0x1c00, v8
	v_mov_b32_e32 v35, v9
	;; [unrolled: 2-line block ×3, first 2 shown]
	v_lshl_add_u64 v[32:33], v[6:7], 0, v[32:33]
	v_lshl_add_u64 v[34:35], v[6:7], 0, v[34:35]
	;; [unrolled: 1-line block ×3, first 2 shown]
	global_load_dword v23, v[30:31], off
	global_load_dword v18, v[32:33], off
	;; [unrolled: 1-line block ×4, first 2 shown]
	global_load_dword v37, v[10:11], off offset:2560
	global_load_dword v21, v[10:11], off offset:2048
	v_or_b32_e32 v1, 0x80, v0
	v_or_b32_e32 v9, 0x100, v0
	;; [unrolled: 1-line block ×4, first 2 shown]
	s_waitcnt vmcnt(19)
	v_lshrrev_b32_e32 v36, 16, v2
	s_waitcnt vmcnt(13)
	v_lshrrev_b32_e32 v35, 16, v28
	;; [unrolled: 2-line block ×10, first 2 shown]
.LBB0_13:
	s_or_b64 exec, exec, s[0:1]
	v_sub_f16_e32 v16, v13, v16
	v_sub_f16_e32 v14, v20, v14
	v_lshrrev_b32_e32 v42, 16, v13
	v_fma_f16 v13, v13, 2.0, -v16
	v_lshrrev_b32_e32 v43, 16, v20
	v_fma_f16 v20, v20, 2.0, -v14
	v_sub_f16_e32 v20, v13, v20
	v_sub_f16_e32 v32, v42, v32
	v_fma_f16 v44, v13, 2.0, -v20
	v_lshrrev_b32_e32 v13, 16, v4
	v_sub_f16_e32 v45, v32, v14
	v_sub_f16_e32 v14, v13, v30
	v_lshrrev_b32_e32 v30, 16, v12
	v_sub_f16_e32 v29, v30, v29
	v_fma_f16 v13, v13, 2.0, -v14
	v_fma_f16 v30, v30, 2.0, -v29
	v_sub_f16_e32 v23, v12, v23
	v_sub_f16_e32 v30, v13, v30
	v_fma_f16 v12, v12, 2.0, -v23
	v_fma_f16 v46, v13, 2.0, -v30
	v_sub_f16_e32 v23, v14, v23
	s_waitcnt vmcnt(0)
	v_lshrrev_b32_e32 v13, 16, v21
	v_sub_f16_e32 v2, v19, v2
	v_lshrrev_b32_e32 v39, 16, v37
	v_sub_f16_e32 v28, v37, v28
	v_fma_f16 v47, v14, 2.0, -v23
	v_sub_f16_e32 v14, v21, v17
	v_sub_f16_e32 v17, v13, v27
	v_lshrrev_b32_e32 v27, 16, v18
	v_lshrrev_b32_e32 v38, 16, v19
	v_fma_f16 v19, v19, 2.0, -v2
	v_sub_f16_e32 v35, v39, v35
	v_fma_f16 v37, v37, 2.0, -v28
	v_sub_f16_e32 v26, v24, v26
	v_lshrrev_b32_e32 v41, 16, v3
	v_sub_f16_e32 v22, v3, v22
	v_sub_f16_e32 v25, v27, v25
	v_fma_f16 v39, v39, 2.0, -v35
	v_sub_f16_e32 v37, v19, v37
	v_add_f16_e32 v35, v2, v35
	v_lshrrev_b32_e32 v40, 16, v24
	v_fma_f16 v24, v24, 2.0, -v26
	v_sub_f16_e32 v33, v41, v33
	v_fma_f16 v3, v3, 2.0, -v22
	v_fma_f16 v13, v13, 2.0, -v17
	;; [unrolled: 1-line block ×6, first 2 shown]
	v_sub_f16_e32 v3, v24, v3
	v_add_f16_e32 v33, v26, v33
	v_sub_f16_e32 v31, v43, v31
	v_sub_f16_e32 v5, v4, v5
	;; [unrolled: 1-line block ×3, first 2 shown]
	v_fma_f16 v24, v24, 2.0, -v3
	v_fma_f16 v26, v26, 2.0, -v33
	v_fma_f16 v43, v43, 2.0, -v31
	v_add_f16_e32 v31, v16, v31
	v_fma_f16 v4, v4, 2.0, -v5
	v_sub_f16_e32 v15, v18, v15
	v_fma_f16 v48, v13, 2.0, -v27
	v_lshl_add_u32 v52, v0, 3, 0
	v_pack_b32_f16 v13, v37, v35
	v_pack_b32_f16 v2, v19, v2
	v_sub_f16_e32 v36, v38, v36
	v_fma_f16 v16, v16, 2.0, -v31
	v_sub_f16_e32 v12, v4, v12
	v_add_f16_e32 v29, v5, v29
	v_fma_f16 v21, v21, 2.0, -v14
	v_fma_f16 v18, v18, 2.0, -v15
	v_add_f16_e32 v25, v14, v25
	ds_write2_b32 v52, v2, v13 offset1:1
	v_lshl_add_u32 v13, v1, 3, 0
	v_pack_b32_f16 v2, v3, v33
	v_pack_b32_f16 v3, v24, v26
	v_fma_f16 v38, v38, 2.0, -v36
	v_sub_f16_e32 v34, v40, v34
	v_fma_f16 v4, v4, 2.0, -v12
	v_fma_f16 v5, v5, 2.0, -v29
	v_sub_f16_e32 v18, v21, v18
	v_fma_f16 v50, v14, 2.0, -v25
	ds_write2_b32 v13, v3, v2 offset1:1
	v_lshl_add_u32 v14, v9, 3, 0
	v_pack_b32_f16 v2, v20, v31
	v_pack_b32_f16 v3, v44, v16
	v_sub_f16_e32 v39, v38, v39
	v_sub_f16_e32 v28, v36, v28
	v_fma_f16 v40, v40, 2.0, -v34
	v_fma_f16 v21, v21, 2.0, -v18
	v_sub_f16_e32 v49, v17, v15
	ds_write2_b32 v14, v3, v2 offset1:1
	v_lshl_add_u32 v15, v10, 3, 0
	v_pack_b32_f16 v2, v12, v29
	v_pack_b32_f16 v3, v4, v5
	v_fma_f16 v38, v38, 2.0, -v39
	v_fma_f16 v36, v36, 2.0, -v28
	v_sub_f16_e32 v41, v40, v41
	v_sub_f16_e32 v22, v34, v22
	v_fma_f16 v42, v42, 2.0, -v32
	ds_write2_b32 v15, v3, v2 offset1:1
	v_lshl_add_u32 v16, v11, 3, 0
	v_pack_b32_f16 v2, v18, v25
	v_pack_b32_f16 v3, v21, v50
	v_fma_f16 v40, v40, 2.0, -v41
	v_fma_f16 v34, v34, 2.0, -v22
	v_sub_f16_e32 v43, v42, v43
	v_fma_f16 v51, v17, 2.0, -v49
	ds_write2_b32 v16, v3, v2 offset1:1
	v_mad_i32_i24 v12, v0, -6, v52
	v_mad_i32_i24 v17, v1, -6, v13
	v_pack_b32_f16 v2, v39, v28
	v_pack_b32_f16 v3, v38, v36
	v_fma_f16 v42, v42, 2.0, -v43
	v_fma_f16 v32, v32, 2.0, -v45
	s_waitcnt lgkmcnt(0)
	s_barrier
	v_mad_i32_i24 v18, v9, -6, v14
	v_mad_i32_i24 v19, v10, -6, v15
	ds_read_u16 v4, v12
	ds_read_u16 v5, v12 offset:1280
	ds_read_u16 v21, v12 offset:1536
	;; [unrolled: 1-line block ×6, first 2 shown]
	v_mad_i32_i24 v20, v11, -6, v16
	ds_read_u16 v33, v17
	ds_read_u16 v35, v18
	ds_read_u16 v37, v19
	ds_read_u16 v44, v20
	ds_read_u16 v50, v12 offset:2816
	ds_read_u16 v53, v12 offset:2560
	;; [unrolled: 1-line block ×9, first 2 shown]
	s_waitcnt lgkmcnt(0)
	s_barrier
	ds_write2_b32 v52, v3, v2 offset1:1
	v_pack_b32_f16 v2, v41, v22
	v_pack_b32_f16 v3, v40, v34
	ds_write2_b32 v13, v3, v2 offset1:1
	v_pack_b32_f16 v2, v43, v45
	v_pack_b32_f16 v3, v42, v32
	;; [unrolled: 3-line block ×4, first 2 shown]
	v_and_b32_e32 v27, 3, v0
	ds_write2_b32 v16, v3, v2 offset1:1
	v_mul_u32_u24_e32 v2, 3, v27
	v_lshlrev_b32_e32 v2, 2, v2
	s_waitcnt lgkmcnt(0)
	s_barrier
	global_load_dwordx3 v[22:24], v2, s[4:5]
	ds_read_u16 v28, v12
	ds_read_u16 v30, v12 offset:1280
	ds_read_u16 v32, v12 offset:1536
	;; [unrolled: 1-line block ×15, first 2 shown]
	s_movk_i32 s0, 0x1f0
	v_lshlrev_b32_e32 v3, 2, v1
	v_lshlrev_b32_e32 v2, 2, v9
	s_mov_b32 s6, 0xbb9c
	s_movk_i32 s1, 0x3b9c
	s_mov_b32 s3, 0xb8b4
	s_movk_i32 s2, 0x34f2
	s_movk_i32 s7, 0x3a79
	s_mov_b32 s8, 0xb4f2
	s_mov_b32 s9, 0xba79
	s_waitcnt vmcnt(0) lgkmcnt(14)
	v_mul_f16_sdwa v51, v30, v22 dst_sel:DWORD dst_unused:UNUSED_PAD src0_sel:DWORD src1_sel:WORD_1
	v_fma_f16 v51, v5, v22, v51
	v_mul_f16_sdwa v5, v5, v22 dst_sel:DWORD dst_unused:UNUSED_PAD src0_sel:DWORD src1_sel:WORD_1
	v_fma_f16 v30, v30, v22, -v5
	s_waitcnt lgkmcnt(7)
	v_mul_f16_sdwa v5, v41, v23 dst_sel:DWORD dst_unused:UNUSED_PAD src0_sel:DWORD src1_sel:WORD_1
	v_fma_f16 v5, v53, v23, v5
	v_mul_f16_sdwa v52, v53, v23 dst_sel:DWORD dst_unused:UNUSED_PAD src0_sel:DWORD src1_sel:WORD_1
	v_mul_f16_sdwa v53, v59, v24 dst_sel:DWORD dst_unused:UNUSED_PAD src0_sel:DWORD src1_sel:WORD_1
	v_fma_f16 v41, v41, v23, -v52
	s_waitcnt lgkmcnt(1)
	v_mul_f16_sdwa v52, v48, v24 dst_sel:DWORD dst_unused:UNUSED_PAD src0_sel:DWORD src1_sel:WORD_1
	v_fma_f16 v48, v48, v24, -v53
	v_mul_f16_sdwa v53, v32, v22 dst_sel:DWORD dst_unused:UNUSED_PAD src0_sel:DWORD src1_sel:WORD_1
	v_fma_f16 v53, v21, v22, v53
	v_mul_f16_sdwa v21, v21, v22 dst_sel:DWORD dst_unused:UNUSED_PAD src0_sel:DWORD src1_sel:WORD_1
	v_fma_f16 v21, v32, v22, -v21
	v_mul_f16_sdwa v32, v40, v23 dst_sel:DWORD dst_unused:UNUSED_PAD src0_sel:DWORD src1_sel:WORD_1
	v_fma_f16 v32, v50, v23, v32
	;; [unrolled: 4-line block ×10, first 2 shown]
	v_mul_f16_sdwa v54, v54, v22 dst_sel:DWORD dst_unused:UNUSED_PAD src0_sel:DWORD src1_sel:WORD_1
	v_fma_f16 v52, v59, v24, v52
	v_fma_f16 v22, v42, v22, -v54
	s_waitcnt lgkmcnt(0)
	v_mul_f16_sdwa v42, v49, v23 dst_sel:DWORD dst_unused:UNUSED_PAD src0_sel:DWORD src1_sel:WORD_1
	v_fma_f16 v42, v60, v23, v42
	v_mul_f16_sdwa v54, v60, v23 dst_sel:DWORD dst_unused:UNUSED_PAD src0_sel:DWORD src1_sel:WORD_1
	v_sub_f16_e32 v60, v4, v5
	v_sub_f16_e32 v52, v51, v52
	v_fma_f16 v4, v4, 2.0, -v60
	v_fma_f16 v5, v51, 2.0, -v52
	v_sub_f16_e32 v51, v4, v5
	v_and_or_b32 v5, v8, s0, v27
	v_fma_f16 v23, v49, v23, -v54
	v_mul_f16_sdwa v49, v46, v24 dst_sel:DWORD dst_unused:UNUSED_PAD src0_sel:DWORD src1_sel:WORD_1
	v_mul_f16_sdwa v54, v57, v24 dst_sel:DWORD dst_unused:UNUSED_PAD src0_sel:DWORD src1_sel:WORD_1
	v_fma_f16 v4, v4, 2.0, -v51
	v_lshl_add_u32 v61, v5, 1, 0
	v_fma_f16 v49, v57, v24, v49
	v_fma_f16 v24, v46, v24, -v54
	ds_read_u16 v46, v17
	ds_read_u16 v54, v18
	;; [unrolled: 1-line block ×4, first 2 shown]
	s_waitcnt lgkmcnt(0)
	s_barrier
	ds_write_b16 v61, v4
	v_sub_f16_e32 v4, v30, v48
	v_add_f16_e32 v48, v60, v4
	v_sub_f16_e32 v32, v33, v32
	v_sub_f16_e32 v50, v53, v50
	s_movk_i32 s0, 0x3f0
	v_fma_f16 v30, v30, 2.0, -v4
	v_fma_f16 v4, v60, 2.0, -v48
	;; [unrolled: 1-line block ×3, first 2 shown]
	v_sub_f16_e32 v47, v21, v47
	v_fma_f16 v53, v53, 2.0, -v50
	v_sub_f16_e32 v34, v35, v34
	v_sub_f16_e32 v38, v58, v38
	ds_write_b16 v61, v48 offset:24
	v_and_or_b32 v48, v3, s0, v27
	v_sub_f16_e32 v53, v33, v53
	ds_write_b16 v61, v51 offset:16
	v_add_f16_e32 v51, v32, v47
	v_fma_f16 v35, v35, 2.0, -v34
	v_fma_f16 v58, v58, 2.0, -v38
	v_lshl_add_u32 v48, v48, 1, 0
	s_movk_i32 s0, 0x5f0
	ds_write_b16 v61, v4 offset:8
	v_fma_f16 v33, v33, 2.0, -v53
	v_fma_f16 v32, v32, 2.0, -v51
	v_sub_f16_e32 v43, v25, v43
	v_sub_f16_e32 v58, v35, v58
	ds_write_b16 v48, v51 offset:24
	v_and_or_b32 v51, v2, s0, v27
	v_lshlrev_b32_e32 v5, 2, v10
	v_sub_f16_e32 v41, v28, v41
	v_fma_f16 v35, v35, 2.0, -v58
	ds_write_b16 v48, v33
	v_add_f16_e32 v33, v34, v43
	v_sub_f16_e32 v36, v37, v36
	v_sub_f16_e32 v39, v55, v39
	;; [unrolled: 1-line block ×4, first 2 shown]
	v_lshl_add_u32 v51, v51, 1, 0
	s_movk_i32 s0, 0x7f0
	v_lshlrev_b32_e32 v4, 2, v11
	v_fma_f16 v28, v28, 2.0, -v41
	v_fma_f16 v34, v34, 2.0, -v33
	;; [unrolled: 1-line block ×3, first 2 shown]
	v_sub_f16_e32 v45, v26, v45
	v_fma_f16 v55, v55, 2.0, -v39
	ds_write_b16 v48, v32 offset:8
	v_fma_f16 v44, v44, 2.0, -v42
	v_sub_f16_e32 v24, v22, v24
	v_fma_f16 v56, v56, 2.0, -v49
	ds_write_b16 v48, v53 offset:16
	ds_write_b16 v51, v35
	ds_write_b16 v51, v34 offset:8
	ds_write_b16 v51, v58 offset:16
	;; [unrolled: 1-line block ×3, first 2 shown]
	v_and_or_b32 v33, v5, s0, v27
	s_movk_i32 s0, 0x9f0
	v_sub_f16_e32 v30, v28, v30
	v_sub_f16_e32 v55, v37, v55
	v_add_f16_e32 v32, v36, v45
	v_sub_f16_e32 v56, v44, v56
	v_add_f16_e32 v53, v42, v24
	v_and_or_b32 v27, v4, s0, v27
	v_fma_f16 v28, v28, 2.0, -v30
	v_fma_f16 v37, v37, 2.0, -v55
	;; [unrolled: 1-line block ×5, first 2 shown]
	v_lshl_add_u32 v33, v33, 1, 0
	v_lshl_add_u32 v27, v27, 1, 0
	ds_write_b16 v33, v37
	ds_write_b16 v33, v36 offset:8
	ds_write_b16 v33, v55 offset:16
	;; [unrolled: 1-line block ×3, first 2 shown]
	ds_write_b16 v27, v44
	ds_write_b16 v27, v42 offset:8
	ds_write_b16 v27, v56 offset:16
	;; [unrolled: 1-line block ×3, first 2 shown]
	s_waitcnt lgkmcnt(0)
	s_barrier
	ds_read_u16 v32, v12
	ds_read_u16 v34, v12 offset:1280
	ds_read_u16 v35, v12 offset:1536
	;; [unrolled: 1-line block ×6, first 2 shown]
	ds_read_u16 v53, v17
	ds_read_u16 v55, v18
	;; [unrolled: 1-line block ×4, first 2 shown]
	ds_read_u16 v60, v12 offset:2816
	ds_read_u16 v62, v12 offset:2560
	;; [unrolled: 1-line block ×9, first 2 shown]
	s_waitcnt lgkmcnt(0)
	s_barrier
	ds_write_b16 v61, v28
	v_sub_f16_e32 v28, v41, v52
	v_fma_f16 v41, v41, 2.0, -v28
	v_fma_f16 v22, v22, 2.0, -v24
	v_sub_f16_e32 v24, v46, v40
	ds_write_b16 v61, v41 offset:8
	ds_write_b16 v61, v30 offset:16
	;; [unrolled: 1-line block ×3, first 2 shown]
	v_fma_f16 v21, v21, 2.0, -v47
	v_fma_f16 v28, v46, 2.0, -v24
	v_sub_f16_e32 v29, v54, v29
	v_sub_f16_e32 v31, v57, v31
	;; [unrolled: 1-line block ×3, first 2 shown]
	v_fma_f16 v25, v25, 2.0, -v43
	v_fma_f16 v26, v26, 2.0, -v45
	v_sub_f16_e32 v21, v28, v21
	v_fma_f16 v40, v54, 2.0, -v29
	v_fma_f16 v41, v57, 2.0, -v31
	;; [unrolled: 1-line block ×4, first 2 shown]
	v_sub_f16_e32 v30, v24, v50
	v_sub_f16_e32 v25, v40, v25
	;; [unrolled: 1-line block ×7, first 2 shown]
	v_fma_f16 v24, v24, 2.0, -v30
	v_fma_f16 v40, v40, 2.0, -v25
	;; [unrolled: 1-line block ×7, first 2 shown]
	ds_write_b16 v48, v28
	ds_write_b16 v48, v24 offset:8
	ds_write_b16 v48, v21 offset:16
	ds_write_b16 v48, v30 offset:24
	ds_write_b16 v51, v40
	ds_write_b16 v51, v29 offset:8
	ds_write_b16 v51, v25 offset:16
	ds_write_b16 v51, v38 offset:24
	;; [unrolled: 4-line block ×4, first 2 shown]
	v_and_b32_e32 v21, 15, v0
	v_mul_u32_u24_e32 v22, 3, v21
	v_lshlrev_b32_e32 v22, 2, v22
	s_waitcnt lgkmcnt(0)
	s_barrier
	global_load_dwordx3 v[22:24], v22, s[4:5] offset:48
	ds_read_u16 v25, v12 offset:1280
	ds_read_u16 v26, v12 offset:1536
	;; [unrolled: 1-line block ×15, first 2 shown]
	ds_read_u16 v47, v12
	s_movk_i32 s0, 0x1c0
	s_waitcnt vmcnt(0) lgkmcnt(14)
	v_mul_f16_sdwa v48, v25, v22 dst_sel:DWORD dst_unused:UNUSED_PAD src0_sel:DWORD src1_sel:WORD_1
	v_fma_f16 v48, v34, v22, v48
	v_mul_f16_sdwa v34, v34, v22 dst_sel:DWORD dst_unused:UNUSED_PAD src0_sel:DWORD src1_sel:WORD_1
	v_mul_f16_sdwa v49, v62, v23 dst_sel:DWORD dst_unused:UNUSED_PAD src0_sel:DWORD src1_sel:WORD_1
	v_mul_f16_sdwa v50, v68, v24 dst_sel:DWORD dst_unused:UNUSED_PAD src0_sel:DWORD src1_sel:WORD_1
	v_fma_f16 v25, v25, v22, -v34
	s_waitcnt lgkmcnt(8)
	v_mul_f16_sdwa v34, v33, v23 dst_sel:DWORD dst_unused:UNUSED_PAD src0_sel:DWORD src1_sel:WORD_1
	v_fma_f16 v33, v33, v23, -v49
	s_waitcnt lgkmcnt(2)
	v_mul_f16_sdwa v49, v45, v24 dst_sel:DWORD dst_unused:UNUSED_PAD src0_sel:DWORD src1_sel:WORD_1
	v_fma_f16 v45, v45, v24, -v50
	v_mul_f16_sdwa v50, v26, v22 dst_sel:DWORD dst_unused:UNUSED_PAD src0_sel:DWORD src1_sel:WORD_1
	v_fma_f16 v50, v35, v22, v50
	v_mul_f16_sdwa v35, v35, v22 dst_sel:DWORD dst_unused:UNUSED_PAD src0_sel:DWORD src1_sel:WORD_1
	v_mul_f16_sdwa v51, v60, v23 dst_sel:DWORD dst_unused:UNUSED_PAD src0_sel:DWORD src1_sel:WORD_1
	;; [unrolled: 1-line block ×3, first 2 shown]
	v_fma_f16 v26, v26, v22, -v35
	v_mul_f16_sdwa v35, v31, v23 dst_sel:DWORD dst_unused:UNUSED_PAD src0_sel:DWORD src1_sel:WORD_1
	v_fma_f16 v31, v31, v23, -v51
	v_mul_f16_sdwa v51, v43, v24 dst_sel:DWORD dst_unused:UNUSED_PAD src0_sel:DWORD src1_sel:WORD_1
	;; [unrolled: 2-line block ×3, first 2 shown]
	v_fma_f16 v52, v36, v22, v52
	v_mul_f16_sdwa v36, v36, v22 dst_sel:DWORD dst_unused:UNUSED_PAD src0_sel:DWORD src1_sel:WORD_1
	v_fma_f16 v27, v27, v22, -v36
	v_mul_f16_sdwa v36, v29, v23 dst_sel:DWORD dst_unused:UNUSED_PAD src0_sel:DWORD src1_sel:WORD_1
	v_fma_f16 v36, v42, v23, v36
	v_mul_f16_sdwa v42, v42, v23 dst_sel:DWORD dst_unused:UNUSED_PAD src0_sel:DWORD src1_sel:WORD_1
	v_mul_f16_sdwa v54, v64, v24 dst_sel:DWORD dst_unused:UNUSED_PAD src0_sel:DWORD src1_sel:WORD_1
	v_fma_f16 v29, v29, v23, -v42
	v_mul_f16_sdwa v42, v39, v24 dst_sel:DWORD dst_unused:UNUSED_PAD src0_sel:DWORD src1_sel:WORD_1
	v_fma_f16 v39, v39, v24, -v54
	v_mul_f16_sdwa v54, v28, v22 dst_sel:DWORD dst_unused:UNUSED_PAD src0_sel:DWORD src1_sel:WORD_1
	v_fma_f16 v54, v37, v22, v54
	v_mul_f16_sdwa v37, v37, v22 dst_sel:DWORD dst_unused:UNUSED_PAD src0_sel:DWORD src1_sel:WORD_1
	v_fma_f16 v28, v28, v22, -v37
	v_mul_f16_sdwa v37, v30, v23 dst_sel:DWORD dst_unused:UNUSED_PAD src0_sel:DWORD src1_sel:WORD_1
	v_fma_f16 v37, v44, v23, v37
	v_mul_f16_sdwa v44, v44, v23 dst_sel:DWORD dst_unused:UNUSED_PAD src0_sel:DWORD src1_sel:WORD_1
	v_mul_f16_sdwa v57, v65, v24 dst_sel:DWORD dst_unused:UNUSED_PAD src0_sel:DWORD src1_sel:WORD_1
	v_fma_f16 v30, v30, v23, -v44
	v_mul_f16_sdwa v44, v40, v24 dst_sel:DWORD dst_unused:UNUSED_PAD src0_sel:DWORD src1_sel:WORD_1
	v_fma_f16 v40, v40, v24, -v57
	v_mul_f16_sdwa v57, v38, v22 dst_sel:DWORD dst_unused:UNUSED_PAD src0_sel:DWORD src1_sel:WORD_1
	v_mul_f16_sdwa v59, v63, v22 dst_sel:DWORD dst_unused:UNUSED_PAD src0_sel:DWORD src1_sel:WORD_1
	v_fma_f16 v57, v63, v22, v57
	v_fma_f16 v22, v38, v22, -v59
	s_waitcnt lgkmcnt(1)
	v_mul_f16_sdwa v38, v46, v23 dst_sel:DWORD dst_unused:UNUSED_PAD src0_sel:DWORD src1_sel:WORD_1
	v_mul_f16_sdwa v59, v69, v23 dst_sel:DWORD dst_unused:UNUSED_PAD src0_sel:DWORD src1_sel:WORD_1
	v_fma_f16 v34, v62, v23, v34
	v_fma_f16 v49, v68, v24, v49
	;; [unrolled: 1-line block ×4, first 2 shown]
	v_fma_f16 v23, v46, v23, -v59
	v_mul_f16_sdwa v46, v41, v24 dst_sel:DWORD dst_unused:UNUSED_PAD src0_sel:DWORD src1_sel:WORD_1
	v_mul_f16_sdwa v59, v66, v24 dst_sel:DWORD dst_unused:UNUSED_PAD src0_sel:DWORD src1_sel:WORD_1
	v_fma_f16 v51, v67, v24, v51
	v_fma_f16 v42, v64, v24, v42
	;; [unrolled: 1-line block ×4, first 2 shown]
	v_fma_f16 v24, v41, v24, -v59
	v_sub_f16_e32 v34, v32, v34
	v_sub_f16_e32 v41, v48, v49
	v_fma_f16 v32, v32, 2.0, -v34
	v_fma_f16 v48, v48, 2.0, -v41
	v_sub_f16_e32 v48, v32, v48
	v_and_or_b32 v62, v8, s0, v21
	v_fma_f16 v32, v32, 2.0, -v48
	v_lshl_add_u32 v62, v62, 1, 0
	ds_read_u16 v49, v17
	ds_read_u16 v59, v18
	;; [unrolled: 1-line block ×4, first 2 shown]
	s_waitcnt lgkmcnt(0)
	s_barrier
	ds_write_b16 v62, v32
	v_sub_f16_e32 v32, v25, v45
	v_fma_f16 v25, v25, 2.0, -v32
	v_add_f16_e32 v32, v34, v32
	s_movk_i32 s0, 0x3c0
	v_fma_f16 v34, v34, 2.0, -v32
	v_sub_f16_e32 v33, v47, v33
	v_and_or_b32 v3, v3, s0, v21
	s_movk_i32 s0, 0x5c0
	ds_write_b16 v62, v34 offset:32
	v_fma_f16 v34, v47, 2.0, -v33
	v_sub_f16_e32 v35, v53, v35
	v_sub_f16_e32 v47, v50, v51
	;; [unrolled: 1-line block ×8, first 2 shown]
	v_and_or_b32 v2, v2, s0, v21
	s_movk_i32 s0, 0x7c0
	v_fma_f16 v45, v53, 2.0, -v35
	v_sub_f16_e32 v43, v26, v43
	v_fma_f16 v50, v50, 2.0, -v47
	v_fma_f16 v51, v55, 2.0, -v36
	v_sub_f16_e32 v39, v27, v39
	v_fma_f16 v52, v52, 2.0, -v42
	;; [unrolled: 3-line block ×4, first 2 shown]
	v_and_or_b32 v5, v5, s0, v21
	s_movk_i32 s0, 0x9c0
	v_sub_f16_e32 v25, v34, v25
	v_fma_f16 v26, v26, 2.0, -v43
	v_sub_f16_e32 v50, v45, v50
	v_add_f16_e32 v43, v35, v43
	v_fma_f16 v27, v27, 2.0, -v39
	v_sub_f16_e32 v52, v51, v52
	v_add_f16_e32 v39, v36, v39
	;; [unrolled: 3-line block ×4, first 2 shown]
	v_and_or_b32 v4, v4, s0, v21
	v_fma_f16 v34, v34, 2.0, -v25
	v_fma_f16 v45, v45, 2.0, -v50
	;; [unrolled: 1-line block ×9, first 2 shown]
	v_lshl_add_u32 v3, v3, 1, 0
	v_lshl_add_u32 v2, v2, 1, 0
	;; [unrolled: 1-line block ×4, first 2 shown]
	v_sub_f16_e32 v21, v33, v41
	v_sub_f16_e32 v31, v49, v31
	;; [unrolled: 1-line block ×5, first 2 shown]
	ds_write_b16 v62, v48 offset:64
	ds_write_b16 v62, v32 offset:96
	ds_write_b16 v3, v45
	ds_write_b16 v3, v35 offset:32
	ds_write_b16 v3, v50 offset:64
	ds_write_b16 v3, v43 offset:96
	ds_write_b16 v2, v51
	ds_write_b16 v2, v36 offset:32
	;; [unrolled: 4-line block ×4, first 2 shown]
	ds_write_b16 v4, v22 offset:64
	ds_write_b16 v4, v24 offset:96
	s_waitcnt lgkmcnt(0)
	s_barrier
	ds_read_u16 v32, v12
	ds_read_u16 v35, v12 offset:768
	ds_read_u16 v36, v12 offset:2560
	;; [unrolled: 1-line block ×15, first 2 shown]
	ds_read_u16 v56, v20
	ds_read_u16 v58, v18
	;; [unrolled: 1-line block ×3, first 2 shown]
	ds_read_u16 v63, v12 offset:4864
	s_waitcnt lgkmcnt(0)
	s_barrier
	ds_write_b16 v62, v34
	v_fma_f16 v24, v33, 2.0, -v21
	v_fma_f16 v33, v49, 2.0, -v31
	v_sub_f16_e32 v34, v31, v47
	v_fma_f16 v41, v59, 2.0, -v29
	v_fma_f16 v47, v60, 2.0, -v30
	;; [unrolled: 1-line block ×3, first 2 shown]
	v_sub_f16_e32 v26, v33, v26
	v_sub_f16_e32 v27, v41, v27
	;; [unrolled: 1-line block ×7, first 2 shown]
	v_fma_f16 v33, v33, 2.0, -v26
	v_fma_f16 v31, v31, 2.0, -v34
	;; [unrolled: 1-line block ×8, first 2 shown]
	ds_write_b16 v62, v24 offset:32
	ds_write_b16 v62, v25 offset:64
	ds_write_b16 v62, v21 offset:96
	ds_write_b16 v3, v33
	ds_write_b16 v3, v31 offset:32
	ds_write_b16 v3, v26 offset:64
	ds_write_b16 v3, v34 offset:96
	ds_write_b16 v2, v41
	;; [unrolled: 4-line block ×4, first 2 shown]
	ds_write_b16 v4, v23 offset:32
	ds_write_b16 v4, v57 offset:64
	ds_write_b16 v4, v46 offset:96
	v_and_b32_e32 v21, 63, v0
	v_mul_u32_u24_e32 v2, 9, v21
	v_lshlrev_b32_e32 v28, 2, v2
	s_waitcnt lgkmcnt(0)
	s_barrier
	global_load_dwordx4 v[24:27], v28, s[4:5] offset:240
	global_load_dwordx4 v[2:5], v28, s[4:5] offset:256
	ds_read_u16 v29, v20
	ds_read_u16 v30, v18
	;; [unrolled: 1-line block ×3, first 2 shown]
	global_load_dword v28, v28, s[4:5] offset:272
	ds_read_u16 v31, v12 offset:2560
	ds_read_u16 v33, v12 offset:2304
	;; [unrolled: 1-line block ×6, first 2 shown]
	s_movk_i32 s0, 0x38b4
	s_waitcnt vmcnt(2)
	v_mul_f16_sdwa v47, v58, v24 dst_sel:DWORD dst_unused:UNUSED_PAD src0_sel:DWORD src1_sel:WORD_1
	s_waitcnt lgkmcnt(7)
	v_mul_f16_sdwa v46, v30, v24 dst_sel:DWORD dst_unused:UNUSED_PAD src0_sel:DWORD src1_sel:WORD_1
	v_fma_f16 v30, v30, v24, -v47
	v_mul_f16_sdwa v47, v29, v25 dst_sel:DWORD dst_unused:UNUSED_PAD src0_sel:DWORD src1_sel:WORD_1
	v_fma_f16 v47, v56, v25, v47
	v_mul_f16_sdwa v49, v56, v25 dst_sel:DWORD dst_unused:UNUSED_PAD src0_sel:DWORD src1_sel:WORD_1
	ds_read_u16 v56, v12 offset:768
	v_fma_f16 v29, v29, v25, -v49
	s_waitcnt lgkmcnt(2)
	v_mul_f16_sdwa v49, v42, v26 dst_sel:DWORD dst_unused:UNUSED_PAD src0_sel:DWORD src1_sel:WORD_1
	v_fma_f16 v49, v40, v26, v49
	v_mul_f16_sdwa v40, v40, v26 dst_sel:DWORD dst_unused:UNUSED_PAD src0_sel:DWORD src1_sel:WORD_1
	v_fma_f16 v40, v42, v26, -v40
	v_mul_f16_sdwa v42, v34, v27 dst_sel:DWORD dst_unused:UNUSED_PAD src0_sel:DWORD src1_sel:WORD_1
	v_fma_f16 v42, v38, v27, v42
	v_mul_f16_sdwa v38, v38, v27 dst_sel:DWORD dst_unused:UNUSED_PAD src0_sel:DWORD src1_sel:WORD_1
	v_fma_f16 v34, v34, v27, -v38
	ds_read_u16 v38, v12
	s_waitcnt lgkmcnt(1)
	v_mul_f16_sdwa v57, v56, v24 dst_sel:DWORD dst_unused:UNUSED_PAD src0_sel:DWORD src1_sel:WORD_1
	v_fma_f16 v57, v35, v24, v57
	v_mul_f16_sdwa v35, v35, v24 dst_sel:DWORD dst_unused:UNUSED_PAD src0_sel:DWORD src1_sel:WORD_1
	v_fma_f16 v46, v58, v24, v46
	v_fma_f16 v24, v56, v24, -v35
	v_mul_f16_sdwa v35, v44, v25 dst_sel:DWORD dst_unused:UNUSED_PAD src0_sel:DWORD src1_sel:WORD_1
	v_fma_f16 v35, v43, v25, v35
	v_mul_f16_sdwa v43, v43, v25 dst_sel:DWORD dst_unused:UNUSED_PAD src0_sel:DWORD src1_sel:WORD_1
	v_fma_f16 v25, v44, v25, -v43
	v_mul_f16_sdwa v43, v41, v26 dst_sel:DWORD dst_unused:UNUSED_PAD src0_sel:DWORD src1_sel:WORD_1
	v_fma_f16 v43, v39, v26, v43
	v_mul_f16_sdwa v39, v39, v26 dst_sel:DWORD dst_unused:UNUSED_PAD src0_sel:DWORD src1_sel:WORD_1
	;; [unrolled: 4-line block ×3, first 2 shown]
	v_fma_f16 v27, v33, v27, -v37
	ds_read_u16 v33, v12 offset:4608
	ds_read_u16 v37, v12 offset:4352
	;; [unrolled: 1-line block ×8, first 2 shown]
	s_waitcnt vmcnt(1)
	v_mul_f16_sdwa v61, v31, v2 dst_sel:DWORD dst_unused:UNUSED_PAD src0_sel:DWORD src1_sel:WORD_1
	v_fma_f16 v61, v36, v2, v61
	v_mul_f16_sdwa v36, v36, v2 dst_sel:DWORD dst_unused:UNUSED_PAD src0_sel:DWORD src1_sel:WORD_1
	v_fma_f16 v31, v31, v2, -v36
	s_waitcnt lgkmcnt(1)
	v_mul_f16_sdwa v36, v59, v3 dst_sel:DWORD dst_unused:UNUSED_PAD src0_sel:DWORD src1_sel:WORD_1
	v_fma_f16 v36, v54, v3, v36
	v_mul_f16_sdwa v54, v54, v3 dst_sel:DWORD dst_unused:UNUSED_PAD src0_sel:DWORD src1_sel:WORD_1
	v_fma_f16 v54, v59, v3, -v54
	v_mul_f16_sdwa v59, v56, v4 dst_sel:DWORD dst_unused:UNUSED_PAD src0_sel:DWORD src1_sel:WORD_1
	v_fma_f16 v59, v52, v4, v59
	v_mul_f16_sdwa v52, v52, v4 dst_sel:DWORD dst_unused:UNUSED_PAD src0_sel:DWORD src1_sel:WORD_1
	v_fma_f16 v52, v56, v4, -v52
	;; [unrolled: 4-line block ×3, first 2 shown]
	s_waitcnt lgkmcnt(0)
	v_mul_f16_sdwa v50, v60, v2 dst_sel:DWORD dst_unused:UNUSED_PAD src0_sel:DWORD src1_sel:WORD_1
	v_fma_f16 v50, v55, v2, v50
	v_mul_f16_sdwa v55, v55, v2 dst_sel:DWORD dst_unused:UNUSED_PAD src0_sel:DWORD src1_sel:WORD_1
	v_fma_f16 v2, v60, v2, -v55
	v_mul_f16_sdwa v55, v58, v3 dst_sel:DWORD dst_unused:UNUSED_PAD src0_sel:DWORD src1_sel:WORD_1
	v_fma_f16 v55, v53, v3, v55
	v_mul_f16_sdwa v53, v53, v3 dst_sel:DWORD dst_unused:UNUSED_PAD src0_sel:DWORD src1_sel:WORD_1
	v_fma_f16 v3, v58, v3, -v53
	;; [unrolled: 4-line block ×4, first 2 shown]
	ds_read_u16 v37, v12 offset:4864
	s_waitcnt vmcnt(0)
	v_mul_f16_sdwa v48, v33, v28 dst_sel:DWORD dst_unused:UNUSED_PAD src0_sel:DWORD src1_sel:WORD_1
	v_fma_f16 v48, v45, v28, v48
	v_mul_f16_sdwa v45, v45, v28 dst_sel:DWORD dst_unused:UNUSED_PAD src0_sel:DWORD src1_sel:WORD_1
	v_fma_f16 v33, v33, v28, -v45
	s_waitcnt lgkmcnt(0)
	v_mul_f16_sdwa v45, v37, v28 dst_sel:DWORD dst_unused:UNUSED_PAD src0_sel:DWORD src1_sel:WORD_1
	v_mul_f16_sdwa v51, v63, v28 dst_sel:DWORD dst_unused:UNUSED_PAD src0_sel:DWORD src1_sel:WORD_1
	v_fma_f16 v45, v63, v28, v45
	v_fma_f16 v28, v37, v28, -v51
	v_add_f16_e32 v37, v42, v36
	v_fma_f16 v37, v37, -0.5, v32
	v_sub_f16_e32 v51, v29, v41
	v_sub_f16_e32 v58, v47, v42
	;; [unrolled: 1-line block ×3, first 2 shown]
	v_add_f16_e32 v58, v58, v60
	v_fma_f16 v60, v51, s6, v37
	v_sub_f16_e32 v62, v34, v54
	v_fma_f16 v37, v51, s1, v37
	v_fma_f16 v60, v62, s3, v60
	v_fma_f16 v37, v62, s0, v37
	v_fma_f16 v60, v58, s2, v60
	v_fma_f16 v37, v58, s2, v37
	v_sub_f16_e32 v58, v42, v47
	v_sub_f16_e32 v63, v36, v56
	v_add_f16_e32 v58, v58, v63
	v_add_f16_e32 v63, v47, v56
	v_fma_f16 v63, v63, -0.5, v32
	v_add_f16_e32 v32, v32, v47
	v_add_f16_e32 v32, v32, v42
	;; [unrolled: 1-line block ×4, first 2 shown]
	v_sub_f16_e32 v47, v47, v56
	v_sub_f16_e32 v36, v42, v36
	;; [unrolled: 1-line block ×4, first 2 shown]
	v_fma_f16 v64, v62, s1, v63
	v_fma_f16 v62, v62, s6, v63
	v_add_f16_e32 v42, v42, v56
	v_add_f16_e32 v56, v34, v54
	v_fma_f16 v63, v51, s3, v64
	v_fma_f16 v51, v51, s0, v62
	v_fma_f16 v56, v56, -0.5, v38
	v_fma_f16 v62, v58, s2, v63
	v_fma_f16 v51, v58, s2, v51
	;; [unrolled: 1-line block ×8, first 2 shown]
	v_add_f16_e32 v56, v29, v41
	v_fma_f16 v56, v56, -0.5, v38
	v_add_f16_e32 v38, v38, v29
	v_add_f16_e32 v38, v38, v34
	v_sub_f16_e32 v29, v34, v29
	v_add_f16_e32 v34, v38, v54
	v_sub_f16_e32 v38, v54, v41
	v_add_f16_e32 v29, v29, v38
	v_fma_f16 v38, v36, s6, v56
	v_fma_f16 v36, v36, s1, v56
	;; [unrolled: 1-line block ×4, first 2 shown]
	v_add_f16_e32 v34, v34, v41
	v_fma_f16 v38, v29, s2, v38
	v_fma_f16 v29, v29, s2, v36
	v_add_f16_e32 v36, v61, v59
	v_sub_f16_e32 v41, v49, v61
	v_sub_f16_e32 v47, v48, v59
	v_fma_f16 v36, v36, -0.5, v46
	v_add_f16_e32 v41, v41, v47
	v_sub_f16_e32 v47, v40, v33
	v_fma_f16 v54, v47, s6, v36
	v_sub_f16_e32 v56, v31, v52
	v_fma_f16 v36, v47, s1, v36
	v_fma_f16 v54, v56, s3, v54
	;; [unrolled: 1-line block ×5, first 2 shown]
	v_sub_f16_e32 v41, v61, v49
	v_sub_f16_e32 v63, v59, v48
	v_add_f16_e32 v41, v41, v63
	v_add_f16_e32 v63, v49, v48
	v_fma_f16 v63, v63, -0.5, v46
	v_add_f16_e32 v46, v46, v49
	v_fma_f16 v64, v56, s1, v63
	v_fma_f16 v56, v56, s6, v63
	v_add_f16_e32 v46, v46, v61
	v_fma_f16 v63, v47, s3, v64
	v_fma_f16 v47, v47, s0, v56
	;; [unrolled: 3-line block ×3, first 2 shown]
	v_add_f16_e32 v46, v46, v48
	v_sub_f16_e32 v47, v49, v48
	v_sub_f16_e32 v48, v61, v59
	;; [unrolled: 1-line block ×4, first 2 shown]
	v_add_f16_e32 v49, v49, v59
	v_add_f16_e32 v59, v31, v52
	v_fma_f16 v59, v59, -0.5, v30
	v_fma_f16 v61, v47, s1, v59
	v_fma_f16 v59, v47, s6, v59
	;; [unrolled: 1-line block ×6, first 2 shown]
	v_add_f16_e32 v59, v40, v33
	v_fma_f16 v59, v59, -0.5, v30
	v_add_f16_e32 v30, v30, v40
	v_add_f16_e32 v30, v30, v31
	;; [unrolled: 1-line block ×3, first 2 shown]
	v_sub_f16_e32 v31, v31, v40
	v_add_f16_e32 v30, v30, v33
	v_sub_f16_e32 v33, v52, v33
	v_add_f16_e32 v31, v31, v33
	v_fma_f16 v33, v48, s6, v59
	v_fma_f16 v33, v47, s0, v33
	;; [unrolled: 1-line block ×5, first 2 shown]
	v_mul_f16_e32 v47, 0xb8b4, v61
	v_mul_f16_e32 v52, 0x3a79, v61
	v_fma_f16 v31, v31, s2, v40
	v_fma_f16 v47, v54, s7, v47
	;; [unrolled: 1-line block ×3, first 2 shown]
	v_mul_f16_e32 v54, 0xbb9c, v33
	v_mul_f16_e32 v33, 0x34f2, v33
	v_fma_f16 v54, v56, s2, v54
	v_fma_f16 v33, v56, s1, v33
	v_mul_f16_e32 v56, 0xbb9c, v31
	v_mul_f16_e32 v31, 0xb4f2, v31
	v_fma_f16 v56, v41, s8, v56
	v_fma_f16 v31, v41, s1, v31
	v_mul_f16_e32 v41, 0xb8b4, v49
	v_mul_f16_e32 v49, 0xba79, v49
	v_add_f16_e32 v48, v60, v47
	v_fma_f16 v41, v36, s9, v41
	v_fma_f16 v36, v36, s0, v49
	v_add_f16_e32 v49, v62, v54
	v_sub_f16_e32 v47, v60, v47
	v_sub_f16_e32 v54, v62, v54
	v_add_f16_e32 v60, v34, v30
	v_sub_f16_e32 v61, v34, v30
	v_add_f16_e32 v62, v29, v31
	;; [unrolled: 2-line block ×3, first 2 shown]
	v_sub_f16_e32 v30, v35, v39
	v_sub_f16_e32 v31, v44, v55
	v_fma_f16 v29, v29, -0.5, v22
	v_add_f16_e32 v30, v30, v31
	v_sub_f16_e32 v31, v25, v5
	v_add_f16_e32 v59, v37, v41
	v_sub_f16_e32 v37, v37, v41
	;; [unrolled: 2-line block ×3, first 2 shown]
	v_fma_f16 v33, v31, s6, v29
	v_sub_f16_e32 v34, v27, v3
	v_fma_f16 v29, v31, s1, v29
	v_fma_f16 v33, v34, s3, v33
	;; [unrolled: 1-line block ×3, first 2 shown]
	v_add_f16_e32 v40, v32, v46
	v_sub_f16_e32 v32, v32, v46
	v_add_f16_e32 v46, v51, v56
	v_sub_f16_e32 v51, v51, v56
	;; [unrolled: 2-line block ×4, first 2 shown]
	v_fma_f16 v33, v30, s2, v33
	v_fma_f16 v29, v30, s2, v29
	v_sub_f16_e32 v30, v39, v35
	v_sub_f16_e32 v42, v55, v44
	v_add_f16_e32 v30, v30, v42
	v_add_f16_e32 v42, v35, v44
	v_fma_f16 v42, v42, -0.5, v22
	v_fma_f16 v64, v34, s1, v42
	v_fma_f16 v34, v34, s6, v42
	v_fma_f16 v42, v31, s3, v64
	v_fma_f16 v31, v31, s0, v34
	v_add_f16_e32 v22, v22, v35
	v_fma_f16 v34, v30, s2, v42
	v_fma_f16 v30, v30, s2, v31
	v_add_f16_e32 v22, v22, v39
	v_sub_f16_e32 v31, v35, v44
	v_sub_f16_e32 v35, v39, v55
	v_sub_f16_e32 v39, v25, v27
	v_sub_f16_e32 v42, v5, v3
	v_add_f16_e32 v39, v39, v42
	v_add_f16_e32 v42, v27, v3
	;; [unrolled: 1-line block ×3, first 2 shown]
	v_fma_f16 v42, v42, -0.5, v23
	v_add_f16_e32 v22, v22, v44
	v_fma_f16 v44, v31, s1, v42
	v_fma_f16 v42, v31, s6, v42
	;; [unrolled: 1-line block ×6, first 2 shown]
	v_add_f16_e32 v42, v25, v5
	v_fma_f16 v42, v42, -0.5, v23
	v_add_f16_e32 v23, v23, v25
	v_add_f16_e32 v23, v23, v27
	v_sub_f16_e32 v25, v27, v25
	v_add_f16_e32 v23, v23, v3
	v_sub_f16_e32 v3, v3, v5
	v_add_f16_e32 v23, v23, v5
	v_add_f16_e32 v3, v25, v3
	v_fma_f16 v5, v35, s6, v42
	v_fma_f16 v25, v35, s1, v42
	;; [unrolled: 1-line block ×6, first 2 shown]
	v_add_f16_e32 v25, v50, v53
	v_sub_f16_e32 v27, v43, v50
	v_sub_f16_e32 v31, v45, v53
	v_fma_f16 v25, v25, -0.5, v57
	v_add_f16_e32 v27, v27, v31
	v_sub_f16_e32 v31, v26, v28
	v_fma_f16 v35, v31, s6, v25
	v_sub_f16_e32 v42, v2, v4
	v_fma_f16 v25, v31, s1, v25
	v_fma_f16 v35, v42, s3, v35
	;; [unrolled: 1-line block ×5, first 2 shown]
	v_sub_f16_e32 v27, v50, v43
	v_sub_f16_e32 v55, v53, v45
	v_add_f16_e32 v27, v27, v55
	v_add_f16_e32 v55, v43, v45
	v_fma_f16 v55, v55, -0.5, v57
	v_fma_f16 v64, v42, s1, v55
	v_fma_f16 v42, v42, s6, v55
	;; [unrolled: 1-line block ×6, first 2 shown]
	v_add_f16_e32 v31, v57, v43
	v_add_f16_e32 v31, v31, v50
	v_add_f16_e32 v31, v31, v53
	v_add_f16_e32 v31, v31, v45
	v_sub_f16_e32 v43, v43, v45
	v_sub_f16_e32 v45, v50, v53
	v_sub_f16_e32 v50, v26, v2
	v_sub_f16_e32 v53, v28, v4
	v_add_f16_e32 v50, v50, v53
	v_add_f16_e32 v53, v2, v4
	v_fma_f16 v53, v53, -0.5, v24
	v_fma_f16 v55, v43, s1, v53
	v_fma_f16 v53, v43, s6, v53
	;; [unrolled: 1-line block ×6, first 2 shown]
	v_add_f16_e32 v53, v26, v28
	v_fma_f16 v53, v53, -0.5, v24
	v_add_f16_e32 v24, v24, v26
	v_add_f16_e32 v24, v24, v2
	v_sub_f16_e32 v2, v2, v26
	v_add_f16_e32 v24, v24, v4
	v_sub_f16_e32 v4, v4, v28
	v_add_f16_e32 v2, v2, v4
	v_fma_f16 v4, v45, s6, v53
	v_fma_f16 v4, v43, s0, v4
	v_add_f16_e32 v24, v24, v28
	v_fma_f16 v4, v2, s2, v4
	v_fma_f16 v26, v45, s1, v53
	v_mul_f16_e32 v28, 0xb8b4, v55
	v_mul_f16_e32 v45, 0x3a79, v55
	v_fma_f16 v26, v43, s3, v26
	v_fma_f16 v28, v35, s7, v28
	;; [unrolled: 1-line block ×3, first 2 shown]
	v_mul_f16_e32 v45, 0xbb9c, v4
	v_mul_f16_e32 v4, 0x34f2, v4
	v_fma_f16 v2, v2, s2, v26
	v_fma_f16 v4, v42, s1, v4
	;; [unrolled: 1-line block ×3, first 2 shown]
	v_mul_f16_e32 v42, 0xbb9c, v2
	v_mul_f16_e32 v2, 0xb4f2, v2
	v_add_f16_e32 v53, v5, v4
	v_sub_f16_e32 v64, v5, v4
	v_lshrrev_b32_e32 v4, 6, v0
	v_fma_f16 v42, v27, s8, v42
	v_fma_f16 v2, v27, s1, v2
	v_mul_f16_e32 v27, 0xb8b4, v50
	v_mul_f16_e32 v50, 0xba79, v50
	v_mul_u32_u24_e32 v4, 0x280, v4
	v_fma_f16 v27, v25, s9, v27
	v_fma_f16 v25, v25, s0, v50
	v_or_b32_e32 v4, v4, v21
	v_add_f16_e32 v26, v22, v31
	v_sub_f16_e32 v22, v22, v31
	v_add_f16_e32 v31, v30, v42
	v_sub_f16_e32 v30, v30, v42
	v_add_f16_e32 v42, v44, v35
	v_add_f16_e32 v57, v3, v2
	v_sub_f16_e32 v35, v44, v35
	v_add_f16_e32 v44, v39, v25
	v_sub_f16_e32 v2, v3, v2
	v_sub_f16_e32 v3, v39, v25
	s_movk_i32 s0, 0x280
	v_lshl_add_u32 v39, v4, 1, 0
	v_lshrrev_b32_e32 v4, 6, v1
	v_mul_lo_u32 v4, v4, s0
	v_or_b32_e32 v4, v4, v21
	v_add_f16_e32 v43, v33, v28
	v_add_f16_e32 v50, v34, v45
	v_sub_f16_e32 v28, v33, v28
	v_add_f16_e32 v33, v29, v27
	v_sub_f16_e32 v34, v34, v45
	v_sub_f16_e32 v27, v29, v27
	s_barrier
	ds_write_b16 v39, v40
	ds_write_b16 v39, v48 offset:128
	ds_write_b16 v39, v49 offset:256
	;; [unrolled: 1-line block ×9, first 2 shown]
	v_lshl_add_u32 v37, v4, 1, 0
	v_add_f16_e32 v45, v23, v24
	v_sub_f16_e32 v55, v23, v24
	ds_write_b16 v37, v26
	ds_write_b16 v37, v43 offset:128
	ds_write_b16 v37, v50 offset:256
	;; [unrolled: 1-line block ×9, first 2 shown]
	s_waitcnt lgkmcnt(0)
	s_barrier
	ds_read_u16 v4, v12
	ds_read_u16 v5, v12 offset:1280
	ds_read_u16 v21, v12 offset:1536
	;; [unrolled: 1-line block ×6, first 2 shown]
	ds_read_u16 v22, v17
	ds_read_u16 v24, v18
	;; [unrolled: 1-line block ×4, first 2 shown]
	ds_read_u16 v19, v12 offset:2816
	ds_read_u16 v17, v12 offset:2560
	;; [unrolled: 1-line block ×9, first 2 shown]
	s_waitcnt lgkmcnt(0)
	s_barrier
	ds_write_b16 v39, v60
	ds_write_b16 v39, v56 offset:128
	ds_write_b16 v39, v41 offset:256
	;; [unrolled: 1-line block ×9, first 2 shown]
	ds_write_b16 v37, v45
	ds_write_b16 v37, v42 offset:128
	ds_write_b16 v37, v53 offset:256
	;; [unrolled: 1-line block ×9, first 2 shown]
	s_waitcnt lgkmcnt(0)
	s_barrier
	s_and_saveexec_b64 s[0:1], vcc
	s_cbranch_execz .LBB0_15
; %bb.14:
	v_mul_i32_i24_e32 v2, 3, v11
	v_mov_b32_e32 v3, 0
	v_lshl_add_u64 v[36:37], v[2:3], 2, s[4:5]
	v_mul_i32_i24_e32 v2, 3, v10
	global_load_dwordx3 v[36:38], v[36:37], off offset:2544
	v_lshl_add_u64 v[40:41], v[2:3], 2, s[4:5]
	global_load_dwordx3 v[40:42], v[40:41], off offset:2544
	v_mul_i32_i24_e32 v2, 3, v9
	v_mul_i32_i24_e32 v43, -6, v10
	v_mul_i32_i24_e32 v47, -6, v11
	v_lshl_add_u64 v[10:11], v[2:3], 2, s[4:5]
	global_load_dwordx3 v[44:46], v[10:11], off offset:2544
	v_mul_u32_u24_e32 v2, 3, v0
	v_add_u32_e32 v10, v16, v47
	v_lshlrev_b32_e32 v2, 2, v2
	v_mul_i32_i24_e32 v39, -6, v9
	ds_read_u16 v9, v12 offset:4864
	ds_read_u16 v51, v12 offset:4608
	;; [unrolled: 1-line block ×8, first 2 shown]
	v_add_u32_e32 v11, v15, v43
	ds_read_u16 v15, v10
	ds_read_u16 v16, v11
	global_load_dwordx3 v[48:50], v2, s[4:5] offset:2544
	v_mul_i32_i24_e32 v2, 3, v1
	v_lshl_add_u64 v[10:11], v[2:3], 2, s[4:5]
	global_load_dwordx3 v[52:54], v[10:11], off offset:2544
	ds_read_u16 v2, v12 offset:2816
	ds_read_u16 v10, v12 offset:2560
	;; [unrolled: 1-line block ×4, first 2 shown]
	v_mul_i32_i24_e32 v35, -6, v1
	v_add_u32_e32 v14, v14, v39
	ds_read_u16 v14, v14
	v_add_u32_e32 v13, v13, v35
	ds_read_u16 v13, v13
	s_movk_i32 s0, 0x1000
	s_waitcnt vmcnt(4) lgkmcnt(10)
	v_mul_f16_sdwa v1, v37, v58 dst_sel:DWORD dst_unused:UNUSED_PAD src0_sel:WORD_1 src1_sel:DWORD
	v_mul_f16_sdwa v43, v32, v36 dst_sel:DWORD dst_unused:UNUSED_PAD src0_sel:DWORD src1_sel:WORD_1
	v_mul_f16_sdwa v47, v33, v38 dst_sel:DWORD dst_unused:UNUSED_PAD src0_sel:DWORD src1_sel:WORD_1
	;; [unrolled: 1-line block ×3, first 2 shown]
	s_waitcnt lgkmcnt(3)
	v_mul_f16_sdwa v63, v11, v36 dst_sel:DWORD dst_unused:UNUSED_PAD src0_sel:DWORD src1_sel:WORD_1
	v_mul_f16_sdwa v64, v9, v38 dst_sel:DWORD dst_unused:UNUSED_PAD src0_sel:DWORD src1_sel:WORD_1
	v_fma_f16 v1, v34, v37, v1
	v_fma_f16 v11, v36, v11, -v43
	v_fma_f16 v9, v38, v9, -v47
	;; [unrolled: 1-line block ×3, first 2 shown]
	v_fma_f16 v32, v32, v36, v63
	s_waitcnt vmcnt(3)
	v_mul_f16_sdwa v36, v41, v59 dst_sel:DWORD dst_unused:UNUSED_PAD src0_sel:WORD_1 src1_sel:DWORD
	ds_read_u16 v47, v12 offset:1792
	s_waitcnt lgkmcnt(3)
	v_mul_f16_sdwa v58, v62, v40 dst_sel:DWORD dst_unused:UNUSED_PAD src0_sel:DWORD src1_sel:WORD_1
	v_mul_f16_sdwa v61, v51, v42 dst_sel:DWORD dst_unused:UNUSED_PAD src0_sel:DWORD src1_sel:WORD_1
	v_fma_f16 v33, v33, v38, v64
	v_mul_f16_sdwa v37, v28, v40 dst_sel:DWORD dst_unused:UNUSED_PAD src0_sel:DWORD src1_sel:WORD_1
	v_mul_f16_sdwa v38, v31, v42 dst_sel:DWORD dst_unused:UNUSED_PAD src0_sel:DWORD src1_sel:WORD_1
	;; [unrolled: 1-line block ×3, first 2 shown]
	v_sub_f16_e32 v1, v29, v1
	v_sub_f16_e32 v9, v11, v9
	;; [unrolled: 1-line block ×3, first 2 shown]
	v_fma_f16 v30, v30, v41, v36
	v_fma_f16 v28, v28, v40, v58
	;; [unrolled: 1-line block ×3, first 2 shown]
	v_sub_f16_e32 v33, v32, v33
	v_fma_f16 v36, v40, v62, -v37
	v_fma_f16 v37, v42, v51, -v38
	;; [unrolled: 1-line block ×3, first 2 shown]
	v_add_f16_e32 v40, v1, v9
	v_fma_f16 v15, v15, 2.0, -v34
	v_fma_f16 v9, v11, 2.0, -v9
	v_sub_f16_e32 v11, v27, v30
	v_sub_f16_e32 v31, v28, v31
	;; [unrolled: 1-line block ×3, first 2 shown]
	v_fma_f16 v29, v29, 2.0, -v1
	v_fma_f16 v32, v32, 2.0, -v33
	v_sub_f16_e32 v30, v36, v37
	v_sub_f16_e32 v33, v16, v38
	v_fma_f16 v37, v1, 2.0, -v40
	v_sub_f16_e32 v38, v15, v9
	v_fma_f16 v1, v27, 2.0, -v11
	v_fma_f16 v9, v28, 2.0, -v31
	v_add_f16_e32 v42, v11, v30
	v_sub_f16_e32 v43, v33, v31
	v_sub_f16_e32 v31, v1, v9
	v_fma_f16 v28, v11, 2.0, -v42
	v_fma_f16 v9, v16, 2.0, -v33
	;; [unrolled: 1-line block ×4, first 2 shown]
	s_waitcnt vmcnt(2)
	v_mul_f16_sdwa v1, v45, v60 dst_sel:DWORD dst_unused:UNUSED_PAD src0_sel:WORD_1 src1_sel:DWORD
	v_sub_f16_e32 v32, v29, v32
	v_sub_f16_e32 v16, v9, v11
	ds_read_u16 v11, v12 offset:1536
	v_fma_f16 v1, v25, v45, v1
	v_mul_f16_sdwa v25, v25, v45 dst_sel:DWORD dst_unused:UNUSED_PAD src0_sel:DWORD src1_sel:WORD_1
	v_fma_f16 v27, v29, 2.0, -v32
	v_fma_f16 v29, v33, 2.0, -v43
	;; [unrolled: 1-line block ×3, first 2 shown]
	v_mul_f16_sdwa v9, v23, v44 dst_sel:DWORD dst_unused:UNUSED_PAD src0_sel:DWORD src1_sel:WORD_1
	v_mul_f16_sdwa v36, v26, v46 dst_sel:DWORD dst_unused:UNUSED_PAD src0_sel:DWORD src1_sel:WORD_1
	v_fma_f16 v25, v45, v60, -v25
	s_waitcnt lgkmcnt(1)
	v_mul_f16_sdwa v45, v47, v44 dst_sel:DWORD dst_unused:UNUSED_PAD src0_sel:DWORD src1_sel:WORD_1
	v_fma_f16 v9, v44, v47, -v9
	v_fma_f16 v36, v46, v55, -v36
	v_fma_f16 v23, v23, v44, v45
	v_mul_f16_sdwa v44, v55, v46 dst_sel:DWORD dst_unused:UNUSED_PAD src0_sel:DWORD src1_sel:WORD_1
	v_sub_f16_e32 v1, v24, v1
	v_sub_f16_e32 v36, v9, v36
	v_sub_f16_e32 v25, v14, v25
	v_fma_f16 v26, v26, v46, v44
	v_add_f16_e32 v39, v1, v36
	v_sub_f16_e32 v26, v23, v26
	v_fma_f16 v14, v14, 2.0, -v25
	v_fma_f16 v9, v9, 2.0, -v36
	;; [unrolled: 1-line block ×3, first 2 shown]
	v_sub_f16_e32 v44, v25, v26
	v_fma_f16 v1, v24, 2.0, -v1
	v_sub_f16_e32 v24, v14, v9
	s_waitcnt vmcnt(0)
	v_mul_f16_sdwa v9, v53, v2 dst_sel:DWORD dst_unused:UNUSED_PAD src0_sel:WORD_1 src1_sel:DWORD
	v_fma_f16 v45, v25, 2.0, -v44
	v_fma_f16 v9, v19, v53, v9
	v_mul_f16_sdwa v25, v21, v52 dst_sel:DWORD dst_unused:UNUSED_PAD src0_sel:DWORD src1_sel:WORD_1
	v_mul_f16_sdwa v36, v20, v54 dst_sel:DWORD dst_unused:UNUSED_PAD src0_sel:DWORD src1_sel:WORD_1
	;; [unrolled: 1-line block ×3, first 2 shown]
	v_fma_f16 v23, v23, 2.0, -v26
	ds_read_u16 v26, v12 offset:1280
	s_waitcnt lgkmcnt(1)
	v_fma_f16 v25, v52, v11, -v25
	v_fma_f16 v36, v54, v56, -v36
	;; [unrolled: 1-line block ×3, first 2 shown]
	v_mul_f16_sdwa v11, v11, v52 dst_sel:DWORD dst_unused:UNUSED_PAD src0_sel:DWORD src1_sel:WORD_1
	v_mul_f16_sdwa v19, v56, v54 dst_sel:DWORD dst_unused:UNUSED_PAD src0_sel:DWORD src1_sel:WORD_1
	v_sub_f16_e32 v9, v22, v9
	v_sub_f16_e32 v36, v25, v36
	v_fma_f16 v11, v21, v52, v11
	v_fma_f16 v19, v20, v54, v19
	v_add_f16_e32 v35, v9, v36
	v_sub_f16_e32 v19, v11, v19
	v_fma_f16 v46, v9, 2.0, -v35
	v_fma_f16 v9, v22, 2.0, -v9
	;; [unrolled: 1-line block ×3, first 2 shown]
	ds_read_u16 v12, v12
	v_sub_f16_e32 v2, v13, v2
	v_sub_f16_e32 v20, v2, v19
	;; [unrolled: 1-line block ×3, first 2 shown]
	v_fma_f16 v22, v9, 2.0, -v19
	v_mul_f16_sdwa v9, v49, v10 dst_sel:DWORD dst_unused:UNUSED_PAD src0_sel:WORD_1 src1_sel:DWORD
	v_fma_f16 v9, v17, v49, v9
	v_mul_f16_sdwa v17, v17, v49 dst_sel:DWORD dst_unused:UNUSED_PAD src0_sel:DWORD src1_sel:WORD_1
	v_fma_f16 v21, v2, 2.0, -v20
	v_fma_f16 v2, v13, 2.0, -v2
	;; [unrolled: 1-line block ×3, first 2 shown]
	v_fma_f16 v10, v49, v10, -v17
	s_waitcnt lgkmcnt(1)
	v_mul_f16_sdwa v17, v26, v48 dst_sel:DWORD dst_unused:UNUSED_PAD src0_sel:DWORD src1_sel:WORD_1
	v_sub_f16_e32 v13, v2, v11
	v_mul_f16_sdwa v11, v5, v48 dst_sel:DWORD dst_unused:UNUSED_PAD src0_sel:DWORD src1_sel:WORD_1
	v_mul_f16_sdwa v25, v18, v50 dst_sel:DWORD dst_unused:UNUSED_PAD src0_sel:DWORD src1_sel:WORD_1
	v_fma_f16 v5, v5, v48, v17
	v_mul_f16_sdwa v17, v57, v50 dst_sel:DWORD dst_unused:UNUSED_PAD src0_sel:DWORD src1_sel:WORD_1
	v_fma_f16 v11, v48, v26, -v11
	v_fma_f16 v25, v50, v57, -v25
	v_fma_f16 v17, v18, v50, v17
	v_sub_f16_e32 v9, v4, v9
	v_sub_f16_e32 v25, v11, v25
	;; [unrolled: 1-line block ×3, first 2 shown]
	v_add_f16_e32 v36, v9, v25
	s_waitcnt lgkmcnt(0)
	v_sub_f16_e32 v10, v12, v10
	v_fma_f16 v4, v4, 2.0, -v9
	v_fma_f16 v5, v5, 2.0, -v17
	;; [unrolled: 1-line block ×3, first 2 shown]
	v_sub_f16_e32 v18, v10, v17
	v_sub_f16_e32 v17, v4, v5
	v_fma_f16 v5, v12, 2.0, -v10
	v_fma_f16 v9, v11, 2.0, -v25
	;; [unrolled: 1-line block ×3, first 2 shown]
	v_sub_f16_e32 v10, v5, v9
	v_fma_f16 v11, v4, 2.0, -v17
	v_fma_f16 v12, v5, 2.0, -v10
	v_mov_b32_e32 v9, v3
	v_lshl_add_u64 v[4:5], v[6:7], 0, v[8:9]
	v_pack_b32_f16 v9, v11, v12
	v_fma_f16 v2, v2, 2.0, -v13
	global_store_dword v[4:5], v9, off
	v_pack_b32_f16 v9, v47, v26
	global_store_dword v[4:5], v9, off offset:2560
	v_pack_b32_f16 v9, v17, v10
	v_add_co_u32_e32 v10, vcc, s0, v4
	v_pack_b32_f16 v2, v22, v2
	s_nop 0
	v_addc_co_u32_e32 v11, vcc, 0, v5, vcc
	global_store_dword v[4:5], v2, off offset:512
	v_pack_b32_f16 v2, v46, v21
	v_sub_f16_e32 v23, v1, v23
	global_store_dword v[10:11], v9, off offset:1024
	v_pack_b32_f16 v9, v36, v18
	global_store_dword v[4:5], v2, off offset:3072
	v_or_b32_e32 v2, 0x1600, v8
	v_fma_f16 v1, v1, 2.0, -v23
	v_fma_f16 v14, v14, 2.0, -v24
	global_store_dword v[10:11], v9, off offset:3584
	v_lshl_add_u64 v[10:11], v[6:7], 0, v[2:3]
	v_pack_b32_f16 v2, v19, v13
	global_store_dword v[10:11], v2, off
	v_or_b32_e32 v2, 0x2000, v8
	v_pack_b32_f16 v1, v1, v14
	v_lshl_add_u64 v[10:11], v[6:7], 0, v[2:3]
	v_pack_b32_f16 v2, v35, v20
	global_store_dword v[4:5], v1, off offset:1024
	v_mov_b32_e32 v1, 0xe00
	global_store_dword v[10:11], v2, off
	v_lshl_or_b32 v2, v0, 2, v1
	v_lshl_add_u64 v[0:1], v[6:7], 0, v[2:3]
	v_pack_b32_f16 v2, v51, v45
	global_store_dword v[0:1], v2, off
	v_or_b32_e32 v2, 0x1800, v8
	v_lshl_add_u64 v[0:1], v[6:7], 0, v[2:3]
	v_pack_b32_f16 v2, v23, v24
	global_store_dword v[0:1], v2, off
	v_or_b32_e32 v2, 0x2200, v8
	v_lshl_add_u64 v[0:1], v[6:7], 0, v[2:3]
	v_pack_b32_f16 v2, v39, v44
	global_store_dword v[0:1], v2, off
	v_pack_b32_f16 v0, v30, v33
	v_or_b32_e32 v2, 0x1000, v8
	global_store_dword v[4:5], v0, off offset:1536
	v_lshl_add_u64 v[0:1], v[6:7], 0, v[2:3]
	v_pack_b32_f16 v2, v28, v29
	global_store_dword v[0:1], v2, off
	v_or_b32_e32 v2, 0x1a00, v8
	v_lshl_add_u64 v[0:1], v[6:7], 0, v[2:3]
	v_pack_b32_f16 v2, v31, v16
	global_store_dword v[0:1], v2, off
	v_or_b32_e32 v2, 0x2400, v8
	v_fma_f16 v15, v15, 2.0, -v38
	v_lshl_add_u64 v[0:1], v[6:7], 0, v[2:3]
	v_pack_b32_f16 v2, v42, v43
	v_fma_f16 v34, v34, 2.0, -v41
	global_store_dword v[0:1], v2, off
	v_pack_b32_f16 v0, v27, v15
	v_or_b32_e32 v2, 0x1200, v8
	global_store_dword v[4:5], v0, off offset:2048
	v_lshl_add_u64 v[0:1], v[6:7], 0, v[2:3]
	v_pack_b32_f16 v2, v37, v34
	global_store_dword v[0:1], v2, off
	v_or_b32_e32 v2, 0x1c00, v8
	v_lshl_add_u64 v[0:1], v[6:7], 0, v[2:3]
	v_pack_b32_f16 v2, v32, v38
	global_store_dword v[0:1], v2, off
	v_or_b32_e32 v2, 0x2600, v8
	v_lshl_add_u64 v[0:1], v[6:7], 0, v[2:3]
	v_pack_b32_f16 v2, v40, v41
	global_store_dword v[0:1], v2, off
.LBB0_15:
	s_endpgm
	.section	.rodata,"a",@progbits
	.p2align	6, 0x0
	.amdhsa_kernel fft_rtc_back_len2560_factors_4_4_4_10_4_wgs_128_tpt_128_halfLds_half_ip_CI_unitstride_sbrr_dirReg
		.amdhsa_group_segment_fixed_size 0
		.amdhsa_private_segment_fixed_size 0
		.amdhsa_kernarg_size 88
		.amdhsa_user_sgpr_count 2
		.amdhsa_user_sgpr_dispatch_ptr 0
		.amdhsa_user_sgpr_queue_ptr 0
		.amdhsa_user_sgpr_kernarg_segment_ptr 1
		.amdhsa_user_sgpr_dispatch_id 0
		.amdhsa_user_sgpr_kernarg_preload_length 0
		.amdhsa_user_sgpr_kernarg_preload_offset 0
		.amdhsa_user_sgpr_private_segment_size 0
		.amdhsa_uses_dynamic_stack 0
		.amdhsa_enable_private_segment 0
		.amdhsa_system_sgpr_workgroup_id_x 1
		.amdhsa_system_sgpr_workgroup_id_y 0
		.amdhsa_system_sgpr_workgroup_id_z 0
		.amdhsa_system_sgpr_workgroup_info 0
		.amdhsa_system_vgpr_workitem_id 0
		.amdhsa_next_free_vgpr 70
		.amdhsa_next_free_sgpr 22
		.amdhsa_accum_offset 72
		.amdhsa_reserve_vcc 1
		.amdhsa_float_round_mode_32 0
		.amdhsa_float_round_mode_16_64 0
		.amdhsa_float_denorm_mode_32 3
		.amdhsa_float_denorm_mode_16_64 3
		.amdhsa_dx10_clamp 1
		.amdhsa_ieee_mode 1
		.amdhsa_fp16_overflow 0
		.amdhsa_tg_split 0
		.amdhsa_exception_fp_ieee_invalid_op 0
		.amdhsa_exception_fp_denorm_src 0
		.amdhsa_exception_fp_ieee_div_zero 0
		.amdhsa_exception_fp_ieee_overflow 0
		.amdhsa_exception_fp_ieee_underflow 0
		.amdhsa_exception_fp_ieee_inexact 0
		.amdhsa_exception_int_div_zero 0
	.end_amdhsa_kernel
	.text
.Lfunc_end0:
	.size	fft_rtc_back_len2560_factors_4_4_4_10_4_wgs_128_tpt_128_halfLds_half_ip_CI_unitstride_sbrr_dirReg, .Lfunc_end0-fft_rtc_back_len2560_factors_4_4_4_10_4_wgs_128_tpt_128_halfLds_half_ip_CI_unitstride_sbrr_dirReg
                                        ; -- End function
	.section	.AMDGPU.csdata,"",@progbits
; Kernel info:
; codeLenInByte = 11376
; NumSgprs: 28
; NumVgprs: 70
; NumAgprs: 0
; TotalNumVgprs: 70
; ScratchSize: 0
; MemoryBound: 0
; FloatMode: 240
; IeeeMode: 1
; LDSByteSize: 0 bytes/workgroup (compile time only)
; SGPRBlocks: 3
; VGPRBlocks: 8
; NumSGPRsForWavesPerEU: 28
; NumVGPRsForWavesPerEU: 70
; AccumOffset: 72
; Occupancy: 7
; WaveLimiterHint : 1
; COMPUTE_PGM_RSRC2:SCRATCH_EN: 0
; COMPUTE_PGM_RSRC2:USER_SGPR: 2
; COMPUTE_PGM_RSRC2:TRAP_HANDLER: 0
; COMPUTE_PGM_RSRC2:TGID_X_EN: 1
; COMPUTE_PGM_RSRC2:TGID_Y_EN: 0
; COMPUTE_PGM_RSRC2:TGID_Z_EN: 0
; COMPUTE_PGM_RSRC2:TIDIG_COMP_CNT: 0
; COMPUTE_PGM_RSRC3_GFX90A:ACCUM_OFFSET: 17
; COMPUTE_PGM_RSRC3_GFX90A:TG_SPLIT: 0
	.text
	.p2alignl 6, 3212836864
	.fill 256, 4, 3212836864
	.type	__hip_cuid_3809f050e853b700,@object ; @__hip_cuid_3809f050e853b700
	.section	.bss,"aw",@nobits
	.globl	__hip_cuid_3809f050e853b700
__hip_cuid_3809f050e853b700:
	.byte	0                               ; 0x0
	.size	__hip_cuid_3809f050e853b700, 1

	.ident	"AMD clang version 19.0.0git (https://github.com/RadeonOpenCompute/llvm-project roc-6.4.0 25133 c7fe45cf4b819c5991fe208aaa96edf142730f1d)"
	.section	".note.GNU-stack","",@progbits
	.addrsig
	.addrsig_sym __hip_cuid_3809f050e853b700
	.amdgpu_metadata
---
amdhsa.kernels:
  - .agpr_count:     0
    .args:
      - .actual_access:  read_only
        .address_space:  global
        .offset:         0
        .size:           8
        .value_kind:     global_buffer
      - .offset:         8
        .size:           8
        .value_kind:     by_value
      - .actual_access:  read_only
        .address_space:  global
        .offset:         16
        .size:           8
        .value_kind:     global_buffer
      - .actual_access:  read_only
        .address_space:  global
        .offset:         24
        .size:           8
        .value_kind:     global_buffer
      - .offset:         32
        .size:           8
        .value_kind:     by_value
      - .actual_access:  read_only
        .address_space:  global
        .offset:         40
        .size:           8
        .value_kind:     global_buffer
      - .actual_access:  read_only
        .address_space:  global
        .offset:         48
        .size:           8
        .value_kind:     global_buffer
      - .offset:         56
        .size:           4
        .value_kind:     by_value
      - .actual_access:  read_only
        .address_space:  global
        .offset:         64
        .size:           8
        .value_kind:     global_buffer
      - .actual_access:  read_only
        .address_space:  global
        .offset:         72
        .size:           8
        .value_kind:     global_buffer
      - .address_space:  global
        .offset:         80
        .size:           8
        .value_kind:     global_buffer
    .group_segment_fixed_size: 0
    .kernarg_segment_align: 8
    .kernarg_segment_size: 88
    .language:       OpenCL C
    .language_version:
      - 2
      - 0
    .max_flat_workgroup_size: 128
    .name:           fft_rtc_back_len2560_factors_4_4_4_10_4_wgs_128_tpt_128_halfLds_half_ip_CI_unitstride_sbrr_dirReg
    .private_segment_fixed_size: 0
    .sgpr_count:     28
    .sgpr_spill_count: 0
    .symbol:         fft_rtc_back_len2560_factors_4_4_4_10_4_wgs_128_tpt_128_halfLds_half_ip_CI_unitstride_sbrr_dirReg.kd
    .uniform_work_group_size: 1
    .uses_dynamic_stack: false
    .vgpr_count:     70
    .vgpr_spill_count: 0
    .wavefront_size: 64
amdhsa.target:   amdgcn-amd-amdhsa--gfx950
amdhsa.version:
  - 1
  - 2
...

	.end_amdgpu_metadata
